;; amdgpu-corpus repo=zjin-lcf/HeCBench kind=compiled arch=gfx906 opt=O3
	.amdgcn_target "amdgcn-amd-amdhsa--gfx906"
	.amdhsa_code_object_version 6
	.text
	.protected	_Z10init_spinsPaPKfxx   ; -- Begin function _Z10init_spinsPaPKfxx
	.globl	_Z10init_spinsPaPKfxx
	.p2align	8
	.type	_Z10init_spinsPaPKfxx,@function
_Z10init_spinsPaPKfxx:                  ; @_Z10init_spinsPaPKfxx
; %bb.0:
	s_load_dword s7, s[4:5], 0x2c
	s_load_dwordx4 s[0:3], s[4:5], 0x10
	v_mov_b32_e32 v1, 0
	v_mov_b32_e32 v2, s6
	s_waitcnt lgkmcnt(0)
	s_and_b32 s7, s7, 0xffff
	v_mad_u64_u32 v[0:1], s[6:7], s7, v2, v[0:1]
	s_mul_i32 s1, s2, s1
	s_mul_hi_u32 s6, s2, s0
	s_add_i32 s1, s6, s1
	s_mul_i32 s3, s3, s0
	s_add_i32 s1, s1, s3
	s_mul_i32 s0, s2, s0
	v_cmp_gt_i64_e32 vcc, s[0:1], v[0:1]
	s_and_saveexec_b64 s[0:1], vcc
	s_cbranch_execz .LBB0_2
; %bb.1:
	s_load_dwordx4 s[0:3], s[4:5], 0x0
	v_lshlrev_b64 v[2:3], 2, v[0:1]
	s_waitcnt lgkmcnt(0)
	v_mov_b32_e32 v4, s3
	v_add_co_u32_e32 v2, vcc, s2, v2
	v_addc_co_u32_e32 v3, vcc, v4, v3, vcc
	global_load_dword v2, v[2:3], off
	v_mov_b32_e32 v3, s1
	v_add_co_u32_e32 v0, vcc, s0, v0
	v_addc_co_u32_e32 v1, vcc, v3, v1, vcc
	s_waitcnt vmcnt(0)
	v_cmp_gt_f32_e32 vcc, 0.5, v2
	v_cndmask_b32_e64 v2, 1, -1, vcc
	global_store_byte v[0:1], v2, off
.LBB0_2:
	s_endpgm
	.section	.rodata,"a",@progbits
	.p2align	6, 0x0
	.amdhsa_kernel _Z10init_spinsPaPKfxx
		.amdhsa_group_segment_fixed_size 0
		.amdhsa_private_segment_fixed_size 0
		.amdhsa_kernarg_size 288
		.amdhsa_user_sgpr_count 6
		.amdhsa_user_sgpr_private_segment_buffer 1
		.amdhsa_user_sgpr_dispatch_ptr 0
		.amdhsa_user_sgpr_queue_ptr 0
		.amdhsa_user_sgpr_kernarg_segment_ptr 1
		.amdhsa_user_sgpr_dispatch_id 0
		.amdhsa_user_sgpr_flat_scratch_init 0
		.amdhsa_user_sgpr_private_segment_size 0
		.amdhsa_uses_dynamic_stack 0
		.amdhsa_system_sgpr_private_segment_wavefront_offset 0
		.amdhsa_system_sgpr_workgroup_id_x 1
		.amdhsa_system_sgpr_workgroup_id_y 0
		.amdhsa_system_sgpr_workgroup_id_z 0
		.amdhsa_system_sgpr_workgroup_info 0
		.amdhsa_system_vgpr_workitem_id 0
		.amdhsa_next_free_vgpr 5
		.amdhsa_next_free_sgpr 8
		.amdhsa_reserve_vcc 1
		.amdhsa_reserve_flat_scratch 0
		.amdhsa_float_round_mode_32 0
		.amdhsa_float_round_mode_16_64 0
		.amdhsa_float_denorm_mode_32 3
		.amdhsa_float_denorm_mode_16_64 3
		.amdhsa_dx10_clamp 1
		.amdhsa_ieee_mode 1
		.amdhsa_fp16_overflow 0
		.amdhsa_exception_fp_ieee_invalid_op 0
		.amdhsa_exception_fp_denorm_src 0
		.amdhsa_exception_fp_ieee_div_zero 0
		.amdhsa_exception_fp_ieee_overflow 0
		.amdhsa_exception_fp_ieee_underflow 0
		.amdhsa_exception_fp_ieee_inexact 0
		.amdhsa_exception_int_div_zero 0
	.end_amdhsa_kernel
	.text
.Lfunc_end0:
	.size	_Z10init_spinsPaPKfxx, .Lfunc_end0-_Z10init_spinsPaPKfxx
                                        ; -- End function
	.set _Z10init_spinsPaPKfxx.num_vgpr, 5
	.set _Z10init_spinsPaPKfxx.num_agpr, 0
	.set _Z10init_spinsPaPKfxx.numbered_sgpr, 8
	.set _Z10init_spinsPaPKfxx.num_named_barrier, 0
	.set _Z10init_spinsPaPKfxx.private_seg_size, 0
	.set _Z10init_spinsPaPKfxx.uses_vcc, 1
	.set _Z10init_spinsPaPKfxx.uses_flat_scratch, 0
	.set _Z10init_spinsPaPKfxx.has_dyn_sized_stack, 0
	.set _Z10init_spinsPaPKfxx.has_recursion, 0
	.set _Z10init_spinsPaPKfxx.has_indirect_call, 0
	.section	.AMDGPU.csdata,"",@progbits
; Kernel info:
; codeLenInByte = 160
; TotalNumSgprs: 12
; NumVgprs: 5
; ScratchSize: 0
; MemoryBound: 0
; FloatMode: 240
; IeeeMode: 1
; LDSByteSize: 0 bytes/workgroup (compile time only)
; SGPRBlocks: 1
; VGPRBlocks: 1
; NumSGPRsForWavesPerEU: 12
; NumVGPRsForWavesPerEU: 5
; Occupancy: 10
; WaveLimiterHint : 0
; COMPUTE_PGM_RSRC2:SCRATCH_EN: 0
; COMPUTE_PGM_RSRC2:USER_SGPR: 6
; COMPUTE_PGM_RSRC2:TRAP_HANDLER: 0
; COMPUTE_PGM_RSRC2:TGID_X_EN: 1
; COMPUTE_PGM_RSRC2:TGID_Y_EN: 0
; COMPUTE_PGM_RSRC2:TGID_Z_EN: 0
; COMPUTE_PGM_RSRC2:TIDIG_COMP_CNT: 0
	.section	.text._Z14update_latticeILb1EEvPaPKaPKffxx,"axG",@progbits,_Z14update_latticeILb1EEvPaPKaPKffxx,comdat
	.protected	_Z14update_latticeILb1EEvPaPKaPKffxx ; -- Begin function _Z14update_latticeILb1EEvPaPKaPKffxx
	.globl	_Z14update_latticeILb1EEvPaPKaPKffxx
	.p2align	8
	.type	_Z14update_latticeILb1EEvPaPKaPKffxx,@function
_Z14update_latticeILb1EEvPaPKaPKffxx:   ; @_Z14update_latticeILb1EEvPaPKaPKffxx
; %bb.0:
	s_load_dword s0, s[4:5], 0x3c
	s_load_dwordx4 s[8:11], s[4:5], 0x20
	v_mov_b32_e32 v1, 0
	v_mov_b32_e32 v2, s6
	;; [unrolled: 1-line block ×3, first 2 shown]
	s_waitcnt lgkmcnt(0)
	s_and_b32 s0, s0, 0xffff
	v_mad_u64_u32 v[2:3], s[0:1], s0, v2, v[0:1]
                                        ; implicit-def: $vgpr0_vgpr1
	v_or_b32_e32 v5, s11, v3
	v_cmp_ne_u64_e32 vcc, 0, v[4:5]
	s_and_saveexec_b64 s[0:1], vcc
	s_xor_b64 s[2:3], exec, s[0:1]
	s_cbranch_execz .LBB1_2
; %bb.1:
	s_ashr_i32 s6, s11, 31
	s_add_u32 s0, s10, s6
	s_mov_b32 s7, s6
	s_addc_u32 s1, s11, s6
	s_xor_b64 s[12:13], s[0:1], s[6:7]
	v_cvt_f32_u32_e32 v0, s12
	v_cvt_f32_u32_e32 v1, s13
	s_sub_u32 s7, 0, s12
	s_subb_u32 s14, 0, s13
	v_ashrrev_i32_e32 v5, 31, v3
	v_madmk_f32 v0, v1, 0x4f800000, v0
	v_rcp_f32_e32 v0, v0
	v_mul_f32_e32 v0, 0x5f7ffffc, v0
	v_mul_f32_e32 v1, 0x2f800000, v0
	v_trunc_f32_e32 v1, v1
	v_madmk_f32 v0, v1, 0xcf800000, v0
	v_cvt_u32_f32_e32 v1, v1
	v_cvt_u32_f32_e32 v0, v0
	v_readfirstlane_b32 s15, v1
	v_readfirstlane_b32 s0, v0
	s_mul_i32 s1, s7, s15
	s_mul_hi_u32 s17, s7, s0
	s_mul_i32 s16, s14, s0
	s_add_i32 s1, s17, s1
	s_add_i32 s1, s1, s16
	s_mul_i32 s18, s7, s0
	s_mul_i32 s17, s0, s1
	s_mul_hi_u32 s19, s0, s18
	s_mul_hi_u32 s16, s0, s1
	s_add_u32 s17, s19, s17
	s_addc_u32 s16, 0, s16
	s_mul_hi_u32 s20, s15, s18
	s_mul_i32 s18, s15, s18
	s_add_u32 s17, s17, s18
	s_mul_hi_u32 s19, s15, s1
	s_addc_u32 s16, s16, s20
	s_addc_u32 s17, s19, 0
	s_mul_i32 s1, s15, s1
	s_add_u32 s1, s16, s1
	s_addc_u32 s16, 0, s17
	s_add_u32 s17, s0, s1
	s_cselect_b64 s[0:1], -1, 0
	s_cmp_lg_u64 s[0:1], 0
	s_addc_u32 s15, s15, s16
	s_mul_i32 s0, s7, s15
	s_mul_hi_u32 s1, s7, s17
	s_add_i32 s0, s1, s0
	s_mul_i32 s14, s14, s17
	s_add_i32 s0, s0, s14
	s_mul_i32 s7, s7, s17
	s_mul_hi_u32 s14, s15, s7
	s_mul_i32 s16, s15, s7
	s_mul_i32 s19, s17, s0
	s_mul_hi_u32 s7, s17, s7
	s_mul_hi_u32 s18, s17, s0
	s_add_u32 s7, s7, s19
	s_addc_u32 s18, 0, s18
	s_add_u32 s7, s7, s16
	s_mul_hi_u32 s1, s15, s0
	s_addc_u32 s7, s18, s14
	s_addc_u32 s1, s1, 0
	s_mul_i32 s0, s15, s0
	s_add_u32 s0, s7, s0
	s_addc_u32 s7, 0, s1
	s_add_u32 s14, s17, s0
	s_cselect_b64 s[0:1], -1, 0
	s_cmp_lg_u64 s[0:1], 0
	v_add_co_u32_e32 v0, vcc, v2, v5
	s_addc_u32 s7, s15, s7
	v_xor_b32_e32 v6, v0, v5
	v_mad_u64_u32 v[0:1], s[0:1], v6, s7, 0
	v_mul_hi_u32 v4, v6, s14
	v_addc_co_u32_e32 v3, vcc, v3, v5, vcc
	v_xor_b32_e32 v7, v3, v5
	v_add_co_u32_e32 v8, vcc, v4, v0
	v_addc_co_u32_e32 v9, vcc, 0, v1, vcc
	v_mad_u64_u32 v[0:1], s[0:1], v7, s14, 0
	v_mad_u64_u32 v[3:4], s[0:1], v7, s7, 0
	v_add_co_u32_e32 v0, vcc, v8, v0
	v_addc_co_u32_e32 v0, vcc, v9, v1, vcc
	v_addc_co_u32_e32 v1, vcc, 0, v4, vcc
	v_add_co_u32_e32 v3, vcc, v0, v3
	v_addc_co_u32_e32 v0, vcc, 0, v1, vcc
	v_mul_lo_u32 v4, s13, v3
	v_mul_lo_u32 v8, s12, v0
	v_mad_u64_u32 v[0:1], s[0:1], s12, v3, 0
	v_add3_u32 v1, v1, v8, v4
	v_sub_u32_e32 v4, v7, v1
	v_mov_b32_e32 v8, s13
	v_sub_co_u32_e32 v0, vcc, v6, v0
	v_subb_co_u32_e64 v4, s[0:1], v4, v8, vcc
	v_subrev_co_u32_e64 v6, s[0:1], s12, v0
	v_subbrev_co_u32_e64 v4, s[0:1], 0, v4, s[0:1]
	v_cmp_le_u32_e64 s[0:1], s13, v4
	v_subb_co_u32_e32 v1, vcc, v7, v1, vcc
	v_cndmask_b32_e64 v8, 0, -1, s[0:1]
	v_cmp_le_u32_e64 s[0:1], s12, v6
	v_cmp_le_u32_e32 vcc, s13, v1
	v_cndmask_b32_e64 v6, 0, -1, s[0:1]
	v_cmp_eq_u32_e64 s[0:1], s13, v4
	v_cndmask_b32_e64 v7, 0, -1, vcc
	v_cmp_le_u32_e32 vcc, s12, v0
	v_cndmask_b32_e64 v4, v8, v6, s[0:1]
	v_cndmask_b32_e64 v0, 0, -1, vcc
	v_cmp_eq_u32_e32 vcc, s13, v1
	v_add_co_u32_e64 v6, s[0:1], 2, v3
	v_add_co_u32_e64 v8, s[0:1], 1, v3
	v_cndmask_b32_e32 v0, v7, v0, vcc
	v_cmp_ne_u32_e32 vcc, 0, v4
	v_cndmask_b32_e32 v1, v8, v6, vcc
	v_cmp_ne_u32_e32 vcc, 0, v0
	v_cndmask_b32_e32 v0, v3, v1, vcc
	v_xor_b32_e32 v1, s6, v5
	v_xor_b32_e32 v0, v0, v1
	v_sub_co_u32_e32 v0, vcc, v0, v1
.LBB1_2:
	s_andn2_saveexec_b64 s[0:1], s[2:3]
	s_cbranch_execz .LBB1_4
; %bb.3:
	v_cvt_f32_u32_e32 v0, s10
	s_sub_i32 s2, 0, s10
	v_rcp_iflag_f32_e32 v0, v0
	v_mul_f32_e32 v0, 0x4f7ffffe, v0
	v_cvt_u32_f32_e32 v0, v0
	v_mul_lo_u32 v1, s2, v0
	v_mul_hi_u32 v1, v0, v1
	v_add_u32_e32 v0, v0, v1
	v_mul_hi_u32 v0, v2, v0
	v_mul_lo_u32 v1, v0, s10
	v_add_u32_e32 v3, 1, v0
	v_sub_u32_e32 v1, v2, v1
	v_subrev_u32_e32 v4, s10, v1
	v_cmp_le_u32_e32 vcc, s10, v1
	v_cndmask_b32_e32 v1, v1, v4, vcc
	v_cndmask_b32_e32 v0, v0, v3, vcc
	v_add_u32_e32 v3, 1, v0
	v_cmp_le_u32_e32 vcc, s10, v1
	v_cndmask_b32_e32 v0, v0, v3, vcc
.LBB1_4:
	s_or_b64 exec, exec, s[0:1]
	v_ashrrev_i32_e32 v1, 31, v0
	v_cmp_gt_i64_e32 vcc, s[8:9], v[0:1]
	s_and_saveexec_b64 s[0:1], vcc
	s_cbranch_execz .LBB1_8
; %bb.5:
	v_mad_u64_u32 v[3:4], s[0:1], v0, s10, 0
	v_sub_co_u32_e32 v2, vcc, v2, v3
	v_ashrrev_i32_e32 v3, 31, v2
	v_cmp_gt_i64_e32 vcc, s[10:11], v[2:3]
	s_and_b64 exec, exec, vcc
	s_cbranch_execz .LBB1_8
; %bb.6:
	v_add_u32_e32 v6, 1, v2
	v_ashrrev_i32_e32 v7, 31, v6
	v_cmp_gt_i64_e32 vcc, s[10:11], v[6:7]
	s_load_dwordx4 s[0:3], s[4:5], 0x0
	s_load_dwordx2 s[6:7], s[4:5], 0x10
	v_cndmask_b32_e32 v10, 0, v6, vcc
	v_mov_b32_e32 v6, s10
	v_cmp_lt_i32_e32 vcc, 0, v2
	v_cndmask_b32_e32 v6, v6, v2, vcc
	v_add_u32_e32 v11, -1, v6
	v_mov_b32_e32 v6, s8
	v_cmp_lt_i32_e32 vcc, 0, v0
	v_cndmask_b32_e32 v6, v6, v0, vcc
	v_add_u32_e32 v8, -1, v6
	v_ashrrev_i32_e32 v6, 31, v8
	v_mul_lo_u32 v12, v6, s10
	s_waitcnt lgkmcnt(0)
	v_mov_b32_e32 v7, s3
	v_mov_b32_e32 v6, s2
	v_mul_lo_u32 v13, v8, s11
	v_mad_u64_u32 v[8:9], s[12:13], v8, s10, v[6:7]
	v_and_b32_e32 v14, 1, v0
	v_cmp_eq_u32_e32 vcc, 0, v14
	v_add_u32_e32 v4, 1, v0
	v_cndmask_b32_e32 v15, v10, v11, vcc
	v_add3_u32 v12, v12, v9, v13
	v_add_co_u32_e32 v11, vcc, v8, v2
	v_ashrrev_i32_e32 v5, 31, v4
	v_addc_co_u32_e32 v12, vcc, v12, v3, vcc
	v_mad_u64_u32 v[9:10], s[12:13], v0, s10, v[2:3]
	v_mul_lo_u32 v16, v0, s11
	v_mul_lo_u32 v17, v1, s10
	v_cmp_gt_i64_e32 vcc, s[8:9], v[4:5]
	v_mov_b32_e32 v1, s3
	v_cndmask_b32_e32 v5, 0, v5, vcc
	v_cndmask_b32_e32 v4, 0, v4, vcc
	v_mul_lo_u32 v8, v4, s11
	v_mul_lo_u32 v18, v5, s10
	v_mad_u64_u32 v[4:5], s[8:9], v4, s10, v[6:7]
	v_add3_u32 v10, v17, v10, v16
	v_add_co_u32_e32 v13, vcc, s2, v9
	v_addc_co_u32_e32 v14, vcc, v1, v10, vcc
	v_mad_u64_u32 v[0:1], s[2:3], v0, s10, v[6:7]
	v_add3_u32 v5, v18, v5, v8
	v_add_co_u32_e32 v2, vcc, v4, v2
	v_addc_co_u32_e32 v3, vcc, v5, v3, vcc
	v_ashrrev_i32_e32 v4, 31, v15
	v_add3_u32 v1, v17, v1, v16
	v_add_co_u32_e32 v0, vcc, v0, v15
	v_addc_co_u32_e32 v1, vcc, v1, v4, vcc
	global_load_ubyte v5, v[11:12], off
	global_load_ubyte v6, v[13:14], off
	;; [unrolled: 1-line block ×4, first 2 shown]
	v_mov_b32_e32 v1, s1
	v_add_co_u32_e32 v0, vcc, s0, v9
	v_addc_co_u32_e32 v1, vcc, v1, v10, vcc
	global_load_sbyte v2, v[0:1], off
	v_lshlrev_b64 v[3:4], 2, v[9:10]
	v_mov_b32_e32 v9, s7
	v_add_co_u32_e32 v3, vcc, s6, v3
	v_addc_co_u32_e32 v4, vcc, v9, v4, vcc
	global_load_dword v3, v[3:4], off
	s_load_dword s0, s[4:5], 0x18
	s_mov_b32 s1, 0x3fb8aa3b
	s_waitcnt vmcnt(4)
	v_add_u16_e32 v4, v6, v5
	s_waitcnt vmcnt(3)
	v_add_u16_e32 v4, v4, v7
	;; [unrolled: 2-line block ×3, first 2 shown]
	v_bfe_i32 v4, v4, 0, 8
	v_cvt_f32_i32_sdwa v4, sext(v4) dst_sel:DWORD dst_unused:UNUSED_PAD src0_sel:WORD_0
	s_waitcnt lgkmcnt(0)
	v_mul_f32_e64 v6, s0, -2.0
	s_mov_b32 s0, 0xc2ce8ed0
	s_waitcnt vmcnt(1)
	v_cvt_f32_i32_sdwa v5, sext(v2) dst_sel:DWORD dst_unused:UNUSED_PAD src0_sel:WORD_0
	v_mul_f32_e32 v4, v6, v4
	v_mul_f32_e32 v4, v4, v5
	;; [unrolled: 1-line block ×3, first 2 shown]
	v_fma_f32 v6, v4, s1, -v5
	v_rndne_f32_e32 v7, v5
	v_fmac_f32_e32 v6, 0x32a5705f, v4
	v_sub_f32_e32 v5, v5, v7
	v_add_f32_e32 v5, v5, v6
	v_cvt_i32_f32_e32 v7, v7
	v_exp_f32_e32 v5, v5
	s_mov_b32 s1, 0x42b17218
	v_cmp_ngt_f32_e32 vcc, s0, v4
	v_mov_b32_e32 v6, 0x7f800000
	v_ldexp_f32 v5, v5, v7
	v_cndmask_b32_e32 v5, 0, v5, vcc
	v_cmp_nlt_f32_e32 vcc, s1, v4
	v_cndmask_b32_e32 v4, v6, v5, vcc
	s_waitcnt vmcnt(0)
	v_cmp_lt_f32_e32 vcc, v3, v4
	s_and_b64 exec, exec, vcc
	s_cbranch_execz .LBB1_8
; %bb.7:
	v_sub_u16_e32 v2, 0, v2
	global_store_byte v[0:1], v2, off
.LBB1_8:
	s_endpgm
	.section	.rodata,"a",@progbits
	.p2align	6, 0x0
	.amdhsa_kernel _Z14update_latticeILb1EEvPaPKaPKffxx
		.amdhsa_group_segment_fixed_size 0
		.amdhsa_private_segment_fixed_size 0
		.amdhsa_kernarg_size 304
		.amdhsa_user_sgpr_count 6
		.amdhsa_user_sgpr_private_segment_buffer 1
		.amdhsa_user_sgpr_dispatch_ptr 0
		.amdhsa_user_sgpr_queue_ptr 0
		.amdhsa_user_sgpr_kernarg_segment_ptr 1
		.amdhsa_user_sgpr_dispatch_id 0
		.amdhsa_user_sgpr_flat_scratch_init 0
		.amdhsa_user_sgpr_private_segment_size 0
		.amdhsa_uses_dynamic_stack 0
		.amdhsa_system_sgpr_private_segment_wavefront_offset 0
		.amdhsa_system_sgpr_workgroup_id_x 1
		.amdhsa_system_sgpr_workgroup_id_y 0
		.amdhsa_system_sgpr_workgroup_id_z 0
		.amdhsa_system_sgpr_workgroup_info 0
		.amdhsa_system_vgpr_workitem_id 0
		.amdhsa_next_free_vgpr 19
		.amdhsa_next_free_sgpr 21
		.amdhsa_reserve_vcc 1
		.amdhsa_reserve_flat_scratch 0
		.amdhsa_float_round_mode_32 0
		.amdhsa_float_round_mode_16_64 0
		.amdhsa_float_denorm_mode_32 3
		.amdhsa_float_denorm_mode_16_64 3
		.amdhsa_dx10_clamp 1
		.amdhsa_ieee_mode 1
		.amdhsa_fp16_overflow 0
		.amdhsa_exception_fp_ieee_invalid_op 0
		.amdhsa_exception_fp_denorm_src 0
		.amdhsa_exception_fp_ieee_div_zero 0
		.amdhsa_exception_fp_ieee_overflow 0
		.amdhsa_exception_fp_ieee_underflow 0
		.amdhsa_exception_fp_ieee_inexact 0
		.amdhsa_exception_int_div_zero 0
	.end_amdhsa_kernel
	.section	.text._Z14update_latticeILb1EEvPaPKaPKffxx,"axG",@progbits,_Z14update_latticeILb1EEvPaPKaPKffxx,comdat
.Lfunc_end1:
	.size	_Z14update_latticeILb1EEvPaPKaPKffxx, .Lfunc_end1-_Z14update_latticeILb1EEvPaPKaPKffxx
                                        ; -- End function
	.set _Z14update_latticeILb1EEvPaPKaPKffxx.num_vgpr, 19
	.set _Z14update_latticeILb1EEvPaPKaPKffxx.num_agpr, 0
	.set _Z14update_latticeILb1EEvPaPKaPKffxx.numbered_sgpr, 21
	.set _Z14update_latticeILb1EEvPaPKaPKffxx.num_named_barrier, 0
	.set _Z14update_latticeILb1EEvPaPKaPKffxx.private_seg_size, 0
	.set _Z14update_latticeILb1EEvPaPKaPKffxx.uses_vcc, 1
	.set _Z14update_latticeILb1EEvPaPKaPKffxx.uses_flat_scratch, 0
	.set _Z14update_latticeILb1EEvPaPKaPKffxx.has_dyn_sized_stack, 0
	.set _Z14update_latticeILb1EEvPaPKaPKffxx.has_recursion, 0
	.set _Z14update_latticeILb1EEvPaPKaPKffxx.has_indirect_call, 0
	.section	.AMDGPU.csdata,"",@progbits
; Kernel info:
; codeLenInByte = 1344
; TotalNumSgprs: 25
; NumVgprs: 19
; ScratchSize: 0
; MemoryBound: 0
; FloatMode: 240
; IeeeMode: 1
; LDSByteSize: 0 bytes/workgroup (compile time only)
; SGPRBlocks: 3
; VGPRBlocks: 4
; NumSGPRsForWavesPerEU: 25
; NumVGPRsForWavesPerEU: 19
; Occupancy: 10
; WaveLimiterHint : 0
; COMPUTE_PGM_RSRC2:SCRATCH_EN: 0
; COMPUTE_PGM_RSRC2:USER_SGPR: 6
; COMPUTE_PGM_RSRC2:TRAP_HANDLER: 0
; COMPUTE_PGM_RSRC2:TGID_X_EN: 1
; COMPUTE_PGM_RSRC2:TGID_Y_EN: 0
; COMPUTE_PGM_RSRC2:TGID_Z_EN: 0
; COMPUTE_PGM_RSRC2:TIDIG_COMP_CNT: 0
	.section	.text._Z14update_latticeILb0EEvPaPKaPKffxx,"axG",@progbits,_Z14update_latticeILb0EEvPaPKaPKffxx,comdat
	.protected	_Z14update_latticeILb0EEvPaPKaPKffxx ; -- Begin function _Z14update_latticeILb0EEvPaPKaPKffxx
	.globl	_Z14update_latticeILb0EEvPaPKaPKffxx
	.p2align	8
	.type	_Z14update_latticeILb0EEvPaPKaPKffxx,@function
_Z14update_latticeILb0EEvPaPKaPKffxx:   ; @_Z14update_latticeILb0EEvPaPKaPKffxx
; %bb.0:
	s_load_dword s0, s[4:5], 0x3c
	s_load_dwordx4 s[8:11], s[4:5], 0x20
	v_mov_b32_e32 v1, 0
	v_mov_b32_e32 v2, s6
	;; [unrolled: 1-line block ×3, first 2 shown]
	s_waitcnt lgkmcnt(0)
	s_and_b32 s0, s0, 0xffff
	v_mad_u64_u32 v[2:3], s[0:1], s0, v2, v[0:1]
                                        ; implicit-def: $vgpr0_vgpr1
	v_or_b32_e32 v5, s11, v3
	v_cmp_ne_u64_e32 vcc, 0, v[4:5]
	s_and_saveexec_b64 s[0:1], vcc
	s_xor_b64 s[2:3], exec, s[0:1]
	s_cbranch_execz .LBB2_2
; %bb.1:
	s_ashr_i32 s6, s11, 31
	s_add_u32 s0, s10, s6
	s_mov_b32 s7, s6
	s_addc_u32 s1, s11, s6
	s_xor_b64 s[12:13], s[0:1], s[6:7]
	v_cvt_f32_u32_e32 v0, s12
	v_cvt_f32_u32_e32 v1, s13
	s_sub_u32 s7, 0, s12
	s_subb_u32 s14, 0, s13
	v_ashrrev_i32_e32 v5, 31, v3
	v_madmk_f32 v0, v1, 0x4f800000, v0
	v_rcp_f32_e32 v0, v0
	v_mul_f32_e32 v0, 0x5f7ffffc, v0
	v_mul_f32_e32 v1, 0x2f800000, v0
	v_trunc_f32_e32 v1, v1
	v_madmk_f32 v0, v1, 0xcf800000, v0
	v_cvt_u32_f32_e32 v1, v1
	v_cvt_u32_f32_e32 v0, v0
	v_readfirstlane_b32 s15, v1
	v_readfirstlane_b32 s0, v0
	s_mul_i32 s1, s7, s15
	s_mul_hi_u32 s17, s7, s0
	s_mul_i32 s16, s14, s0
	s_add_i32 s1, s17, s1
	s_add_i32 s1, s1, s16
	s_mul_i32 s18, s7, s0
	s_mul_i32 s17, s0, s1
	s_mul_hi_u32 s19, s0, s18
	s_mul_hi_u32 s16, s0, s1
	s_add_u32 s17, s19, s17
	s_addc_u32 s16, 0, s16
	s_mul_hi_u32 s20, s15, s18
	s_mul_i32 s18, s15, s18
	s_add_u32 s17, s17, s18
	s_mul_hi_u32 s19, s15, s1
	s_addc_u32 s16, s16, s20
	s_addc_u32 s17, s19, 0
	s_mul_i32 s1, s15, s1
	s_add_u32 s1, s16, s1
	s_addc_u32 s16, 0, s17
	s_add_u32 s17, s0, s1
	s_cselect_b64 s[0:1], -1, 0
	s_cmp_lg_u64 s[0:1], 0
	s_addc_u32 s15, s15, s16
	s_mul_i32 s0, s7, s15
	s_mul_hi_u32 s1, s7, s17
	s_add_i32 s0, s1, s0
	s_mul_i32 s14, s14, s17
	s_add_i32 s0, s0, s14
	s_mul_i32 s7, s7, s17
	s_mul_hi_u32 s14, s15, s7
	s_mul_i32 s16, s15, s7
	s_mul_i32 s19, s17, s0
	s_mul_hi_u32 s7, s17, s7
	s_mul_hi_u32 s18, s17, s0
	s_add_u32 s7, s7, s19
	s_addc_u32 s18, 0, s18
	s_add_u32 s7, s7, s16
	s_mul_hi_u32 s1, s15, s0
	s_addc_u32 s7, s18, s14
	s_addc_u32 s1, s1, 0
	s_mul_i32 s0, s15, s0
	s_add_u32 s0, s7, s0
	s_addc_u32 s7, 0, s1
	s_add_u32 s14, s17, s0
	s_cselect_b64 s[0:1], -1, 0
	s_cmp_lg_u64 s[0:1], 0
	v_add_co_u32_e32 v0, vcc, v2, v5
	s_addc_u32 s7, s15, s7
	v_xor_b32_e32 v6, v0, v5
	v_mad_u64_u32 v[0:1], s[0:1], v6, s7, 0
	v_mul_hi_u32 v4, v6, s14
	v_addc_co_u32_e32 v3, vcc, v3, v5, vcc
	v_xor_b32_e32 v7, v3, v5
	v_add_co_u32_e32 v8, vcc, v4, v0
	v_addc_co_u32_e32 v9, vcc, 0, v1, vcc
	v_mad_u64_u32 v[0:1], s[0:1], v7, s14, 0
	v_mad_u64_u32 v[3:4], s[0:1], v7, s7, 0
	v_add_co_u32_e32 v0, vcc, v8, v0
	v_addc_co_u32_e32 v0, vcc, v9, v1, vcc
	v_addc_co_u32_e32 v1, vcc, 0, v4, vcc
	v_add_co_u32_e32 v3, vcc, v0, v3
	v_addc_co_u32_e32 v0, vcc, 0, v1, vcc
	v_mul_lo_u32 v4, s13, v3
	v_mul_lo_u32 v8, s12, v0
	v_mad_u64_u32 v[0:1], s[0:1], s12, v3, 0
	v_add3_u32 v1, v1, v8, v4
	v_sub_u32_e32 v4, v7, v1
	v_mov_b32_e32 v8, s13
	v_sub_co_u32_e32 v0, vcc, v6, v0
	v_subb_co_u32_e64 v4, s[0:1], v4, v8, vcc
	v_subrev_co_u32_e64 v6, s[0:1], s12, v0
	v_subbrev_co_u32_e64 v4, s[0:1], 0, v4, s[0:1]
	v_cmp_le_u32_e64 s[0:1], s13, v4
	v_subb_co_u32_e32 v1, vcc, v7, v1, vcc
	v_cndmask_b32_e64 v8, 0, -1, s[0:1]
	v_cmp_le_u32_e64 s[0:1], s12, v6
	v_cmp_le_u32_e32 vcc, s13, v1
	v_cndmask_b32_e64 v6, 0, -1, s[0:1]
	v_cmp_eq_u32_e64 s[0:1], s13, v4
	v_cndmask_b32_e64 v7, 0, -1, vcc
	v_cmp_le_u32_e32 vcc, s12, v0
	v_cndmask_b32_e64 v4, v8, v6, s[0:1]
	v_cndmask_b32_e64 v0, 0, -1, vcc
	v_cmp_eq_u32_e32 vcc, s13, v1
	v_add_co_u32_e64 v6, s[0:1], 2, v3
	v_add_co_u32_e64 v8, s[0:1], 1, v3
	v_cndmask_b32_e32 v0, v7, v0, vcc
	v_cmp_ne_u32_e32 vcc, 0, v4
	v_cndmask_b32_e32 v1, v8, v6, vcc
	v_cmp_ne_u32_e32 vcc, 0, v0
	v_cndmask_b32_e32 v0, v3, v1, vcc
	v_xor_b32_e32 v1, s6, v5
	v_xor_b32_e32 v0, v0, v1
	v_sub_co_u32_e32 v0, vcc, v0, v1
.LBB2_2:
	s_andn2_saveexec_b64 s[0:1], s[2:3]
	s_cbranch_execz .LBB2_4
; %bb.3:
	v_cvt_f32_u32_e32 v0, s10
	s_sub_i32 s2, 0, s10
	v_rcp_iflag_f32_e32 v0, v0
	v_mul_f32_e32 v0, 0x4f7ffffe, v0
	v_cvt_u32_f32_e32 v0, v0
	v_mul_lo_u32 v1, s2, v0
	v_mul_hi_u32 v1, v0, v1
	v_add_u32_e32 v0, v0, v1
	v_mul_hi_u32 v0, v2, v0
	v_mul_lo_u32 v1, v0, s10
	v_add_u32_e32 v3, 1, v0
	v_sub_u32_e32 v1, v2, v1
	v_subrev_u32_e32 v4, s10, v1
	v_cmp_le_u32_e32 vcc, s10, v1
	v_cndmask_b32_e32 v1, v1, v4, vcc
	v_cndmask_b32_e32 v0, v0, v3, vcc
	v_add_u32_e32 v3, 1, v0
	v_cmp_le_u32_e32 vcc, s10, v1
	v_cndmask_b32_e32 v0, v0, v3, vcc
.LBB2_4:
	s_or_b64 exec, exec, s[0:1]
	v_ashrrev_i32_e32 v1, 31, v0
	v_cmp_gt_i64_e32 vcc, s[8:9], v[0:1]
	s_and_saveexec_b64 s[0:1], vcc
	s_cbranch_execz .LBB2_8
; %bb.5:
	v_mad_u64_u32 v[3:4], s[0:1], v0, s10, 0
	v_sub_co_u32_e32 v2, vcc, v2, v3
	v_ashrrev_i32_e32 v3, 31, v2
	v_cmp_gt_i64_e32 vcc, s[10:11], v[2:3]
	s_and_b64 exec, exec, vcc
	s_cbranch_execz .LBB2_8
; %bb.6:
	v_add_u32_e32 v6, 1, v2
	v_ashrrev_i32_e32 v7, 31, v6
	v_cmp_gt_i64_e32 vcc, s[10:11], v[6:7]
	s_load_dwordx4 s[0:3], s[4:5], 0x0
	s_load_dwordx2 s[6:7], s[4:5], 0x10
	v_cndmask_b32_e32 v10, 0, v6, vcc
	v_mov_b32_e32 v6, s10
	v_cmp_lt_i32_e32 vcc, 0, v2
	v_cndmask_b32_e32 v6, v6, v2, vcc
	v_add_u32_e32 v11, -1, v6
	v_mov_b32_e32 v6, s8
	v_cmp_lt_i32_e32 vcc, 0, v0
	v_cndmask_b32_e32 v6, v6, v0, vcc
	v_add_u32_e32 v8, -1, v6
	v_ashrrev_i32_e32 v6, 31, v8
	v_mul_lo_u32 v12, v6, s10
	s_waitcnt lgkmcnt(0)
	v_mov_b32_e32 v7, s3
	v_mov_b32_e32 v6, s2
	v_mul_lo_u32 v13, v8, s11
	v_mad_u64_u32 v[8:9], s[12:13], v8, s10, v[6:7]
	v_and_b32_e32 v14, 1, v0
	v_cmp_eq_u32_e32 vcc, 0, v14
	v_add_u32_e32 v4, 1, v0
	v_cndmask_b32_e32 v15, v11, v10, vcc
	v_add3_u32 v12, v12, v9, v13
	v_add_co_u32_e32 v11, vcc, v8, v2
	v_ashrrev_i32_e32 v5, 31, v4
	v_addc_co_u32_e32 v12, vcc, v12, v3, vcc
	v_mad_u64_u32 v[9:10], s[12:13], v0, s10, v[2:3]
	v_mul_lo_u32 v16, v0, s11
	v_mul_lo_u32 v17, v1, s10
	v_cmp_gt_i64_e32 vcc, s[8:9], v[4:5]
	v_mov_b32_e32 v1, s3
	v_cndmask_b32_e32 v5, 0, v5, vcc
	v_cndmask_b32_e32 v4, 0, v4, vcc
	v_mul_lo_u32 v8, v4, s11
	v_mul_lo_u32 v18, v5, s10
	v_mad_u64_u32 v[4:5], s[8:9], v4, s10, v[6:7]
	v_add3_u32 v10, v17, v10, v16
	v_add_co_u32_e32 v13, vcc, s2, v9
	v_addc_co_u32_e32 v14, vcc, v1, v10, vcc
	v_mad_u64_u32 v[0:1], s[2:3], v0, s10, v[6:7]
	v_add3_u32 v5, v18, v5, v8
	v_add_co_u32_e32 v2, vcc, v4, v2
	v_addc_co_u32_e32 v3, vcc, v5, v3, vcc
	v_ashrrev_i32_e32 v4, 31, v15
	v_add3_u32 v1, v17, v1, v16
	v_add_co_u32_e32 v0, vcc, v0, v15
	v_addc_co_u32_e32 v1, vcc, v1, v4, vcc
	global_load_ubyte v5, v[11:12], off
	global_load_ubyte v6, v[13:14], off
	;; [unrolled: 1-line block ×4, first 2 shown]
	v_mov_b32_e32 v1, s1
	v_add_co_u32_e32 v0, vcc, s0, v9
	v_addc_co_u32_e32 v1, vcc, v1, v10, vcc
	global_load_sbyte v2, v[0:1], off
	v_lshlrev_b64 v[3:4], 2, v[9:10]
	v_mov_b32_e32 v9, s7
	v_add_co_u32_e32 v3, vcc, s6, v3
	v_addc_co_u32_e32 v4, vcc, v9, v4, vcc
	global_load_dword v3, v[3:4], off
	s_load_dword s0, s[4:5], 0x18
	s_mov_b32 s1, 0x3fb8aa3b
	s_waitcnt vmcnt(4)
	v_add_u16_e32 v4, v6, v5
	s_waitcnt vmcnt(3)
	v_add_u16_e32 v4, v4, v7
	;; [unrolled: 2-line block ×3, first 2 shown]
	v_bfe_i32 v4, v4, 0, 8
	v_cvt_f32_i32_sdwa v4, sext(v4) dst_sel:DWORD dst_unused:UNUSED_PAD src0_sel:WORD_0
	s_waitcnt lgkmcnt(0)
	v_mul_f32_e64 v6, s0, -2.0
	s_mov_b32 s0, 0xc2ce8ed0
	s_waitcnt vmcnt(1)
	v_cvt_f32_i32_sdwa v5, sext(v2) dst_sel:DWORD dst_unused:UNUSED_PAD src0_sel:WORD_0
	v_mul_f32_e32 v4, v6, v4
	v_mul_f32_e32 v4, v4, v5
	;; [unrolled: 1-line block ×3, first 2 shown]
	v_fma_f32 v6, v4, s1, -v5
	v_rndne_f32_e32 v7, v5
	v_fmac_f32_e32 v6, 0x32a5705f, v4
	v_sub_f32_e32 v5, v5, v7
	v_add_f32_e32 v5, v5, v6
	v_cvt_i32_f32_e32 v7, v7
	v_exp_f32_e32 v5, v5
	s_mov_b32 s1, 0x42b17218
	v_cmp_ngt_f32_e32 vcc, s0, v4
	v_mov_b32_e32 v6, 0x7f800000
	v_ldexp_f32 v5, v5, v7
	v_cndmask_b32_e32 v5, 0, v5, vcc
	v_cmp_nlt_f32_e32 vcc, s1, v4
	v_cndmask_b32_e32 v4, v6, v5, vcc
	s_waitcnt vmcnt(0)
	v_cmp_lt_f32_e32 vcc, v3, v4
	s_and_b64 exec, exec, vcc
	s_cbranch_execz .LBB2_8
; %bb.7:
	v_sub_u16_e32 v2, 0, v2
	global_store_byte v[0:1], v2, off
.LBB2_8:
	s_endpgm
	.section	.rodata,"a",@progbits
	.p2align	6, 0x0
	.amdhsa_kernel _Z14update_latticeILb0EEvPaPKaPKffxx
		.amdhsa_group_segment_fixed_size 0
		.amdhsa_private_segment_fixed_size 0
		.amdhsa_kernarg_size 304
		.amdhsa_user_sgpr_count 6
		.amdhsa_user_sgpr_private_segment_buffer 1
		.amdhsa_user_sgpr_dispatch_ptr 0
		.amdhsa_user_sgpr_queue_ptr 0
		.amdhsa_user_sgpr_kernarg_segment_ptr 1
		.amdhsa_user_sgpr_dispatch_id 0
		.amdhsa_user_sgpr_flat_scratch_init 0
		.amdhsa_user_sgpr_private_segment_size 0
		.amdhsa_uses_dynamic_stack 0
		.amdhsa_system_sgpr_private_segment_wavefront_offset 0
		.amdhsa_system_sgpr_workgroup_id_x 1
		.amdhsa_system_sgpr_workgroup_id_y 0
		.amdhsa_system_sgpr_workgroup_id_z 0
		.amdhsa_system_sgpr_workgroup_info 0
		.amdhsa_system_vgpr_workitem_id 0
		.amdhsa_next_free_vgpr 19
		.amdhsa_next_free_sgpr 21
		.amdhsa_reserve_vcc 1
		.amdhsa_reserve_flat_scratch 0
		.amdhsa_float_round_mode_32 0
		.amdhsa_float_round_mode_16_64 0
		.amdhsa_float_denorm_mode_32 3
		.amdhsa_float_denorm_mode_16_64 3
		.amdhsa_dx10_clamp 1
		.amdhsa_ieee_mode 1
		.amdhsa_fp16_overflow 0
		.amdhsa_exception_fp_ieee_invalid_op 0
		.amdhsa_exception_fp_denorm_src 0
		.amdhsa_exception_fp_ieee_div_zero 0
		.amdhsa_exception_fp_ieee_overflow 0
		.amdhsa_exception_fp_ieee_underflow 0
		.amdhsa_exception_fp_ieee_inexact 0
		.amdhsa_exception_int_div_zero 0
	.end_amdhsa_kernel
	.section	.text._Z14update_latticeILb0EEvPaPKaPKffxx,"axG",@progbits,_Z14update_latticeILb0EEvPaPKaPKffxx,comdat
.Lfunc_end2:
	.size	_Z14update_latticeILb0EEvPaPKaPKffxx, .Lfunc_end2-_Z14update_latticeILb0EEvPaPKaPKffxx
                                        ; -- End function
	.set _Z14update_latticeILb0EEvPaPKaPKffxx.num_vgpr, 19
	.set _Z14update_latticeILb0EEvPaPKaPKffxx.num_agpr, 0
	.set _Z14update_latticeILb0EEvPaPKaPKffxx.numbered_sgpr, 21
	.set _Z14update_latticeILb0EEvPaPKaPKffxx.num_named_barrier, 0
	.set _Z14update_latticeILb0EEvPaPKaPKffxx.private_seg_size, 0
	.set _Z14update_latticeILb0EEvPaPKaPKffxx.uses_vcc, 1
	.set _Z14update_latticeILb0EEvPaPKaPKffxx.uses_flat_scratch, 0
	.set _Z14update_latticeILb0EEvPaPKaPKffxx.has_dyn_sized_stack, 0
	.set _Z14update_latticeILb0EEvPaPKaPKffxx.has_recursion, 0
	.set _Z14update_latticeILb0EEvPaPKaPKffxx.has_indirect_call, 0
	.section	.AMDGPU.csdata,"",@progbits
; Kernel info:
; codeLenInByte = 1344
; TotalNumSgprs: 25
; NumVgprs: 19
; ScratchSize: 0
; MemoryBound: 0
; FloatMode: 240
; IeeeMode: 1
; LDSByteSize: 0 bytes/workgroup (compile time only)
; SGPRBlocks: 3
; VGPRBlocks: 4
; NumSGPRsForWavesPerEU: 25
; NumVGPRsForWavesPerEU: 19
; Occupancy: 10
; WaveLimiterHint : 0
; COMPUTE_PGM_RSRC2:SCRATCH_EN: 0
; COMPUTE_PGM_RSRC2:USER_SGPR: 6
; COMPUTE_PGM_RSRC2:TRAP_HANDLER: 0
; COMPUTE_PGM_RSRC2:TGID_X_EN: 1
; COMPUTE_PGM_RSRC2:TGID_Y_EN: 0
; COMPUTE_PGM_RSRC2:TGID_Z_EN: 0
; COMPUTE_PGM_RSRC2:TIDIG_COMP_CNT: 0
	.section	.AMDGPU.gpr_maximums,"",@progbits
	.set amdgpu.max_num_vgpr, 0
	.set amdgpu.max_num_agpr, 0
	.set amdgpu.max_num_sgpr, 0
	.section	.AMDGPU.csdata,"",@progbits
	.type	__hip_cuid_da536861a67cd0a4,@object ; @__hip_cuid_da536861a67cd0a4
	.section	.bss,"aw",@nobits
	.globl	__hip_cuid_da536861a67cd0a4
__hip_cuid_da536861a67cd0a4:
	.byte	0                               ; 0x0
	.size	__hip_cuid_da536861a67cd0a4, 1

	.ident	"AMD clang version 22.0.0git (https://github.com/RadeonOpenCompute/llvm-project roc-7.2.4 26084 f58b06dce1f9c15707c5f808fd002e18c2accf7e)"
	.section	".note.GNU-stack","",@progbits
	.addrsig
	.addrsig_sym __hip_cuid_da536861a67cd0a4
	.amdgpu_metadata
---
amdhsa.kernels:
  - .args:
      - .address_space:  global
        .offset:         0
        .size:           8
        .value_kind:     global_buffer
      - .actual_access:  read_only
        .address_space:  global
        .offset:         8
        .size:           8
        .value_kind:     global_buffer
      - .offset:         16
        .size:           8
        .value_kind:     by_value
      - .offset:         24
        .size:           8
        .value_kind:     by_value
      - .offset:         32
        .size:           4
        .value_kind:     hidden_block_count_x
      - .offset:         36
        .size:           4
        .value_kind:     hidden_block_count_y
      - .offset:         40
        .size:           4
        .value_kind:     hidden_block_count_z
      - .offset:         44
        .size:           2
        .value_kind:     hidden_group_size_x
      - .offset:         46
        .size:           2
        .value_kind:     hidden_group_size_y
      - .offset:         48
        .size:           2
        .value_kind:     hidden_group_size_z
      - .offset:         50
        .size:           2
        .value_kind:     hidden_remainder_x
      - .offset:         52
        .size:           2
        .value_kind:     hidden_remainder_y
      - .offset:         54
        .size:           2
        .value_kind:     hidden_remainder_z
      - .offset:         72
        .size:           8
        .value_kind:     hidden_global_offset_x
      - .offset:         80
        .size:           8
        .value_kind:     hidden_global_offset_y
      - .offset:         88
        .size:           8
        .value_kind:     hidden_global_offset_z
      - .offset:         96
        .size:           2
        .value_kind:     hidden_grid_dims
    .group_segment_fixed_size: 0
    .kernarg_segment_align: 8
    .kernarg_segment_size: 288
    .language:       OpenCL C
    .language_version:
      - 2
      - 0
    .max_flat_workgroup_size: 1024
    .name:           _Z10init_spinsPaPKfxx
    .private_segment_fixed_size: 0
    .sgpr_count:     12
    .sgpr_spill_count: 0
    .symbol:         _Z10init_spinsPaPKfxx.kd
    .uniform_work_group_size: 1
    .uses_dynamic_stack: false
    .vgpr_count:     5
    .vgpr_spill_count: 0
    .wavefront_size: 64
  - .args:
      - .address_space:  global
        .offset:         0
        .size:           8
        .value_kind:     global_buffer
      - .actual_access:  read_only
        .address_space:  global
        .offset:         8
        .size:           8
        .value_kind:     global_buffer
      - .actual_access:  read_only
        .address_space:  global
        .offset:         16
        .size:           8
        .value_kind:     global_buffer
      - .offset:         24
        .size:           4
        .value_kind:     by_value
      - .offset:         32
        .size:           8
        .value_kind:     by_value
      - .offset:         40
        .size:           8
        .value_kind:     by_value
      - .offset:         48
        .size:           4
        .value_kind:     hidden_block_count_x
      - .offset:         52
        .size:           4
        .value_kind:     hidden_block_count_y
      - .offset:         56
        .size:           4
        .value_kind:     hidden_block_count_z
      - .offset:         60
        .size:           2
        .value_kind:     hidden_group_size_x
      - .offset:         62
        .size:           2
        .value_kind:     hidden_group_size_y
      - .offset:         64
        .size:           2
        .value_kind:     hidden_group_size_z
      - .offset:         66
        .size:           2
        .value_kind:     hidden_remainder_x
      - .offset:         68
        .size:           2
        .value_kind:     hidden_remainder_y
      - .offset:         70
        .size:           2
        .value_kind:     hidden_remainder_z
      - .offset:         88
        .size:           8
        .value_kind:     hidden_global_offset_x
      - .offset:         96
        .size:           8
        .value_kind:     hidden_global_offset_y
      - .offset:         104
        .size:           8
        .value_kind:     hidden_global_offset_z
      - .offset:         112
        .size:           2
        .value_kind:     hidden_grid_dims
    .group_segment_fixed_size: 0
    .kernarg_segment_align: 8
    .kernarg_segment_size: 304
    .language:       OpenCL C
    .language_version:
      - 2
      - 0
    .max_flat_workgroup_size: 1024
    .name:           _Z14update_latticeILb1EEvPaPKaPKffxx
    .private_segment_fixed_size: 0
    .sgpr_count:     25
    .sgpr_spill_count: 0
    .symbol:         _Z14update_latticeILb1EEvPaPKaPKffxx.kd
    .uniform_work_group_size: 1
    .uses_dynamic_stack: false
    .vgpr_count:     19
    .vgpr_spill_count: 0
    .wavefront_size: 64
  - .args:
      - .address_space:  global
        .offset:         0
        .size:           8
        .value_kind:     global_buffer
      - .actual_access:  read_only
        .address_space:  global
        .offset:         8
        .size:           8
        .value_kind:     global_buffer
      - .actual_access:  read_only
        .address_space:  global
        .offset:         16
        .size:           8
        .value_kind:     global_buffer
      - .offset:         24
        .size:           4
        .value_kind:     by_value
      - .offset:         32
        .size:           8
        .value_kind:     by_value
      - .offset:         40
        .size:           8
        .value_kind:     by_value
      - .offset:         48
        .size:           4
        .value_kind:     hidden_block_count_x
      - .offset:         52
        .size:           4
        .value_kind:     hidden_block_count_y
      - .offset:         56
        .size:           4
        .value_kind:     hidden_block_count_z
      - .offset:         60
        .size:           2
        .value_kind:     hidden_group_size_x
      - .offset:         62
        .size:           2
        .value_kind:     hidden_group_size_y
      - .offset:         64
        .size:           2
        .value_kind:     hidden_group_size_z
      - .offset:         66
        .size:           2
        .value_kind:     hidden_remainder_x
      - .offset:         68
        .size:           2
        .value_kind:     hidden_remainder_y
      - .offset:         70
        .size:           2
        .value_kind:     hidden_remainder_z
      - .offset:         88
        .size:           8
        .value_kind:     hidden_global_offset_x
      - .offset:         96
        .size:           8
        .value_kind:     hidden_global_offset_y
      - .offset:         104
        .size:           8
        .value_kind:     hidden_global_offset_z
      - .offset:         112
        .size:           2
        .value_kind:     hidden_grid_dims
    .group_segment_fixed_size: 0
    .kernarg_segment_align: 8
    .kernarg_segment_size: 304
    .language:       OpenCL C
    .language_version:
      - 2
      - 0
    .max_flat_workgroup_size: 1024
    .name:           _Z14update_latticeILb0EEvPaPKaPKffxx
    .private_segment_fixed_size: 0
    .sgpr_count:     25
    .sgpr_spill_count: 0
    .symbol:         _Z14update_latticeILb0EEvPaPKaPKffxx.kd
    .uniform_work_group_size: 1
    .uses_dynamic_stack: false
    .vgpr_count:     19
    .vgpr_spill_count: 0
    .wavefront_size: 64
amdhsa.target:   amdgcn-amd-amdhsa--gfx906
amdhsa.version:
  - 1
  - 2
...

	.end_amdgpu_metadata
